;; amdgpu-corpus repo=ROCm/rocFFT kind=compiled arch=gfx950 opt=O3
	.text
	.amdgcn_target "amdgcn-amd-amdhsa--gfx950"
	.amdhsa_code_object_version 6
	.protected	fft_rtc_back_len720_factors_10_3_8_3_wgs_240_tpt_120_halfLds_sp_op_CI_CI_unitstride_sbrr_C2R_dirReg ; -- Begin function fft_rtc_back_len720_factors_10_3_8_3_wgs_240_tpt_120_halfLds_sp_op_CI_CI_unitstride_sbrr_C2R_dirReg
	.globl	fft_rtc_back_len720_factors_10_3_8_3_wgs_240_tpt_120_halfLds_sp_op_CI_CI_unitstride_sbrr_C2R_dirReg
	.p2align	8
	.type	fft_rtc_back_len720_factors_10_3_8_3_wgs_240_tpt_120_halfLds_sp_op_CI_CI_unitstride_sbrr_C2R_dirReg,@function
fft_rtc_back_len720_factors_10_3_8_3_wgs_240_tpt_120_halfLds_sp_op_CI_CI_unitstride_sbrr_C2R_dirReg: ; @fft_rtc_back_len720_factors_10_3_8_3_wgs_240_tpt_120_halfLds_sp_op_CI_CI_unitstride_sbrr_C2R_dirReg
; %bb.0:
	s_load_dwordx4 s[4:7], s[0:1], 0x58
	s_load_dwordx4 s[8:11], s[0:1], 0x0
	;; [unrolled: 1-line block ×3, first 2 shown]
	v_mul_u32_u24_e32 v1, 0x223, v0
	v_lshrrev_b32_e32 v1, 16, v1
	v_lshl_add_u32 v6, s2, 1, v1
	v_mov_b32_e32 v4, 0
	s_waitcnt lgkmcnt(0)
	v_cmp_lt_u64_e64 s[2:3], s[10:11], 2
	v_mov_b32_e32 v7, v4
	s_and_b64 vcc, exec, s[2:3]
	v_mov_b64_e32 v[2:3], 0
	s_cbranch_vccnz .LBB0_8
; %bb.1:
	s_load_dwordx2 s[2:3], s[0:1], 0x10
	s_add_u32 s16, s14, 8
	s_addc_u32 s17, s15, 0
	s_add_u32 s18, s12, 8
	s_addc_u32 s19, s13, 0
	s_waitcnt lgkmcnt(0)
	s_add_u32 s20, s2, 8
	v_mov_b64_e32 v[2:3], 0
	s_addc_u32 s21, s3, 0
	s_mov_b64 s[22:23], 1
	v_mov_b64_e32 v[16:17], v[2:3]
.LBB0_2:                                ; =>This Inner Loop Header: Depth=1
	s_load_dwordx2 s[24:25], s[20:21], 0x0
                                        ; implicit-def: $vgpr18_vgpr19
	s_waitcnt lgkmcnt(0)
	v_or_b32_e32 v5, s25, v7
	v_cmp_ne_u64_e32 vcc, 0, v[4:5]
	s_and_saveexec_b64 s[2:3], vcc
	s_xor_b64 s[26:27], exec, s[2:3]
	s_cbranch_execz .LBB0_4
; %bb.3:                                ;   in Loop: Header=BB0_2 Depth=1
	v_cvt_f32_u32_e32 v5, s24
	v_cvt_f32_u32_e32 v8, s25
	s_sub_u32 s2, 0, s24
	s_subb_u32 s3, 0, s25
	v_fmac_f32_e32 v5, 0x4f800000, v8
	v_rcp_f32_e32 v5, v5
	s_nop 0
	v_mul_f32_e32 v5, 0x5f7ffffc, v5
	v_mul_f32_e32 v8, 0x2f800000, v5
	v_trunc_f32_e32 v8, v8
	v_fmac_f32_e32 v5, 0xcf800000, v8
	v_cvt_u32_f32_e32 v12, v8
	v_cvt_u32_f32_e32 v5, v5
	v_mul_lo_u32 v8, s2, v12
	v_mul_hi_u32 v10, s2, v5
	v_mul_lo_u32 v9, s3, v5
	v_add_u32_e32 v10, v10, v8
	v_mul_lo_u32 v13, s2, v5
	v_add_u32_e32 v14, v10, v9
	v_mul_hi_u32 v8, v5, v13
	v_mul_hi_u32 v11, v5, v14
	v_mul_lo_u32 v10, v5, v14
	v_mov_b32_e32 v9, v4
	v_lshl_add_u64 v[8:9], v[8:9], 0, v[10:11]
	v_mul_hi_u32 v11, v12, v13
	v_mul_lo_u32 v13, v12, v13
	v_add_co_u32_e32 v8, vcc, v8, v13
	v_mul_hi_u32 v10, v12, v14
	s_nop 0
	v_addc_co_u32_e32 v8, vcc, v9, v11, vcc
	v_mov_b32_e32 v9, v4
	s_nop 0
	v_addc_co_u32_e32 v11, vcc, 0, v10, vcc
	v_mul_lo_u32 v10, v12, v14
	v_lshl_add_u64 v[8:9], v[8:9], 0, v[10:11]
	v_add_co_u32_e32 v5, vcc, v5, v8
	v_mul_lo_u32 v10, s2, v5
	s_nop 0
	v_addc_co_u32_e32 v12, vcc, v12, v9, vcc
	v_mul_lo_u32 v8, s2, v12
	v_mul_hi_u32 v9, s2, v5
	v_add_u32_e32 v8, v9, v8
	v_mul_lo_u32 v9, s3, v5
	v_add_u32_e32 v13, v8, v9
	v_mul_hi_u32 v15, v12, v10
	v_mul_lo_u32 v18, v12, v10
	v_mul_hi_u32 v9, v5, v13
	v_mul_lo_u32 v8, v5, v13
	v_mul_hi_u32 v10, v5, v10
	v_mov_b32_e32 v11, v4
	v_lshl_add_u64 v[8:9], v[10:11], 0, v[8:9]
	v_add_co_u32_e32 v8, vcc, v8, v18
	v_mul_hi_u32 v14, v12, v13
	s_nop 0
	v_addc_co_u32_e32 v8, vcc, v9, v15, vcc
	v_mul_lo_u32 v10, v12, v13
	s_nop 0
	v_addc_co_u32_e32 v11, vcc, 0, v14, vcc
	v_mov_b32_e32 v9, v4
	v_lshl_add_u64 v[8:9], v[8:9], 0, v[10:11]
	v_add_co_u32_e32 v5, vcc, v5, v8
	v_mul_hi_u32 v10, v6, v5
	s_nop 0
	v_addc_co_u32_e32 v12, vcc, v12, v9, vcc
	v_mad_u64_u32 v[8:9], s[2:3], v6, v12, 0
	v_mov_b32_e32 v11, v4
	v_lshl_add_u64 v[8:9], v[10:11], 0, v[8:9]
	v_mad_u64_u32 v[10:11], s[2:3], v7, v12, 0
	v_mad_u64_u32 v[12:13], s[2:3], v7, v5, 0
	v_add_co_u32_e32 v5, vcc, v8, v12
	s_nop 1
	v_addc_co_u32_e32 v8, vcc, v9, v13, vcc
	v_mov_b32_e32 v9, v4
	s_nop 0
	v_addc_co_u32_e32 v11, vcc, 0, v11, vcc
	v_lshl_add_u64 v[8:9], v[8:9], 0, v[10:11]
	v_mul_lo_u32 v5, s25, v8
	v_mul_lo_u32 v12, s24, v9
	v_mad_u64_u32 v[10:11], s[2:3], s24, v8, 0
	v_add3_u32 v5, v11, v12, v5
	v_sub_u32_e32 v11, v7, v5
	v_mov_b32_e32 v12, s25
	v_sub_co_u32_e32 v14, vcc, v6, v10
	s_nop 1
	v_subb_co_u32_e64 v10, s[2:3], v11, v12, vcc
	v_subrev_co_u32_e64 v11, s[2:3], s24, v14
	v_subb_co_u32_e32 v5, vcc, v7, v5, vcc
	s_nop 0
	v_subbrev_co_u32_e64 v10, s[2:3], 0, v10, s[2:3]
	v_cmp_le_u32_e64 s[2:3], s25, v10
	v_cmp_le_u32_e32 vcc, s25, v5
	s_nop 0
	v_cndmask_b32_e64 v12, 0, -1, s[2:3]
	v_cmp_le_u32_e64 s[2:3], s24, v11
	s_nop 1
	v_cndmask_b32_e64 v11, 0, -1, s[2:3]
	v_cmp_eq_u32_e64 s[2:3], s25, v10
	s_nop 1
	v_cndmask_b32_e64 v15, v12, v11, s[2:3]
	v_lshl_add_u64 v[10:11], v[8:9], 0, 2
	v_lshl_add_u64 v[12:13], v[8:9], 0, 1
	v_cmp_ne_u32_e64 s[2:3], 0, v15
	s_nop 1
	v_cndmask_b32_e64 v11, v13, v11, s[2:3]
	v_cndmask_b32_e64 v13, 0, -1, vcc
	v_cmp_le_u32_e32 vcc, s24, v14
	s_nop 1
	v_cndmask_b32_e64 v14, 0, -1, vcc
	v_cmp_eq_u32_e32 vcc, s25, v5
	s_nop 1
	v_cndmask_b32_e32 v5, v13, v14, vcc
	v_cmp_ne_u32_e32 vcc, 0, v5
	v_cndmask_b32_e64 v5, v12, v10, s[2:3]
	s_nop 0
	v_cndmask_b32_e32 v19, v9, v11, vcc
	v_cndmask_b32_e32 v18, v8, v5, vcc
.LBB0_4:                                ;   in Loop: Header=BB0_2 Depth=1
	s_andn2_saveexec_b64 s[2:3], s[26:27]
	s_cbranch_execz .LBB0_6
; %bb.5:                                ;   in Loop: Header=BB0_2 Depth=1
	v_cvt_f32_u32_e32 v5, s24
	s_sub_i32 s26, 0, s24
	v_mov_b32_e32 v19, v4
	v_rcp_iflag_f32_e32 v5, v5
	s_nop 0
	v_mul_f32_e32 v5, 0x4f7ffffe, v5
	v_cvt_u32_f32_e32 v5, v5
	v_mul_lo_u32 v8, s26, v5
	v_mul_hi_u32 v8, v5, v8
	v_add_u32_e32 v5, v5, v8
	v_mul_hi_u32 v5, v6, v5
	v_mul_lo_u32 v8, v5, s24
	v_sub_u32_e32 v8, v6, v8
	v_add_u32_e32 v9, 1, v5
	v_subrev_u32_e32 v10, s24, v8
	v_cmp_le_u32_e32 vcc, s24, v8
	s_nop 1
	v_cndmask_b32_e32 v8, v8, v10, vcc
	v_cndmask_b32_e32 v5, v5, v9, vcc
	v_add_u32_e32 v9, 1, v5
	v_cmp_le_u32_e32 vcc, s24, v8
	s_nop 1
	v_cndmask_b32_e32 v18, v5, v9, vcc
.LBB0_6:                                ;   in Loop: Header=BB0_2 Depth=1
	s_or_b64 exec, exec, s[2:3]
	v_mad_u64_u32 v[8:9], s[2:3], v18, s24, 0
	s_load_dwordx2 s[2:3], s[18:19], 0x0
	v_mul_lo_u32 v5, v19, s24
	v_mul_lo_u32 v10, v18, s25
	s_load_dwordx2 s[24:25], s[16:17], 0x0
	s_add_u32 s22, s22, 1
	v_add3_u32 v5, v9, v10, v5
	v_sub_co_u32_e32 v6, vcc, v6, v8
	s_addc_u32 s23, s23, 0
	s_nop 0
	v_subb_co_u32_e32 v5, vcc, v7, v5, vcc
	s_add_u32 s16, s16, 8
	s_waitcnt lgkmcnt(0)
	v_mul_lo_u32 v7, s2, v5
	v_mul_lo_u32 v8, s3, v6
	v_mad_u64_u32 v[2:3], s[2:3], s2, v6, v[2:3]
	s_addc_u32 s17, s17, 0
	v_add3_u32 v3, v8, v3, v7
	v_mul_lo_u32 v5, s24, v5
	v_mul_lo_u32 v7, s25, v6
	v_mad_u64_u32 v[16:17], s[2:3], s24, v6, v[16:17]
	s_add_u32 s18, s18, 8
	v_add3_u32 v17, v7, v17, v5
	s_addc_u32 s19, s19, 0
	v_mov_b64_e32 v[6:7], s[10:11]
	s_add_u32 s20, s20, 8
	v_cmp_ge_u64_e32 vcc, s[22:23], v[6:7]
	s_addc_u32 s21, s21, 0
	s_cbranch_vccnz .LBB0_9
; %bb.7:                                ;   in Loop: Header=BB0_2 Depth=1
	v_mov_b64_e32 v[6:7], v[18:19]
	s_branch .LBB0_2
.LBB0_8:
	v_mov_b64_e32 v[16:17], v[2:3]
	v_mov_b64_e32 v[18:19], v[6:7]
.LBB0_9:
	s_load_dwordx2 s[2:3], s[0:1], 0x28
	s_lshl_b64 s[16:17], s[10:11], 3
	s_add_u32 s14, s14, s16
	v_and_b32_e32 v1, 1, v1
	s_addc_u32 s15, s15, s17
	v_cmp_eq_u32_e32 vcc, 1, v1
	v_mov_b32_e32 v1, 0x2d1
	s_waitcnt lgkmcnt(0)
	v_cmp_gt_u64_e64 s[0:1], s[2:3], v[18:19]
	v_cmp_le_u64_e64 s[2:3], s[2:3], v[18:19]
                                        ; implicit-def: $vgpr20
	s_and_saveexec_b64 s[10:11], s[2:3]
	s_xor_b64 s[2:3], exec, s[10:11]
; %bb.10:
	s_mov_b32 s10, 0x2222223
	v_mul_hi_u32 v2, v0, s10
	v_mul_u32_u24_e32 v2, 0x78, v2
	v_sub_u32_e32 v20, v0, v2
                                        ; implicit-def: $vgpr0
                                        ; implicit-def: $vgpr2_vgpr3
; %bb.11:
	s_or_saveexec_b64 s[10:11], s[2:3]
	s_load_dwordx2 s[2:3], s[14:15], 0x0
	v_cndmask_b32_e32 v4, 0, v1, vcc
	v_lshlrev_b32_e32 v70, 3, v4
	s_xor_b64 exec, exec, s[10:11]
	s_cbranch_execz .LBB0_15
; %bb.12:
	s_add_u32 s12, s12, s16
	s_addc_u32 s13, s13, s17
	s_load_dwordx2 s[12:13], s[12:13], 0x0
	s_mov_b32 s14, 0x2222223
	s_waitcnt lgkmcnt(0)
	v_mul_lo_u32 v1, s13, v18
	v_mul_lo_u32 v5, s12, v19
	v_mad_u64_u32 v[6:7], s[12:13], s12, v18, 0
	v_add3_u32 v7, v7, v5, v1
	v_mul_hi_u32 v1, v0, s14
	v_mul_u32_u24_e32 v1, 0x78, v1
	v_sub_u32_e32 v20, v0, v1
	v_lshl_add_u64 v[0:1], v[6:7], 3, s[4:5]
	v_lshl_add_u64 v[0:1], v[2:3], 3, v[0:1]
	v_lshlrev_b32_e32 v2, 3, v20
	v_mov_b32_e32 v3, 0
	v_lshl_add_u64 v[6:7], v[0:1], 0, v[2:3]
	v_add_co_u32_e32 v22, vcc, 0x1000, v6
	global_load_dwordx2 v[8:9], v[6:7], off
	global_load_dwordx2 v[10:11], v[6:7], off offset:960
	global_load_dwordx2 v[12:13], v[6:7], off offset:1920
	;; [unrolled: 1-line block ×3, first 2 shown]
	v_addc_co_u32_e32 v23, vcc, 0, v7, vcc
	global_load_dwordx2 v[24:25], v[6:7], off offset:3840
	global_load_dwordx2 v[26:27], v[22:23], off offset:704
	s_movk_i32 s4, 0x77
	v_add3_u32 v2, 0, v70, v2
	v_cmp_eq_u32_e32 vcc, s4, v20
	v_add_u32_e32 v3, 0x400, v2
	v_add_u32_e32 v5, 0xc00, v2
	s_waitcnt vmcnt(4)
	ds_write2_b64 v2, v[8:9], v[10:11] offset1:120
	s_waitcnt vmcnt(2)
	ds_write2_b64 v3, v[12:13], v[14:15] offset0:112 offset1:232
	s_waitcnt vmcnt(0)
	ds_write2_b64 v5, v[24:25], v[26:27] offset0:96 offset1:216
	s_and_saveexec_b64 s[4:5], vcc
	s_cbranch_execz .LBB0_14
; %bb.13:
	v_add_co_u32_e32 v0, vcc, 0x1000, v0
	v_mov_b32_e32 v20, 0x77
	s_nop 0
	v_addc_co_u32_e32 v1, vcc, 0, v1, vcc
	global_load_dwordx2 v[0:1], v[0:1], off offset:1664
	s_waitcnt vmcnt(0)
	ds_write_b64 v2, v[0:1] offset:4808
.LBB0_14:
	s_or_b64 exec, exec, s[4:5]
.LBB0_15:
	s_or_b64 exec, exec, s[10:11]
	v_lshl_add_u32 v68, v4, 3, 0
	v_lshlrev_b32_e32 v0, 3, v20
	v_add_u32_e32 v69, v68, v0
	s_waitcnt lgkmcnt(0)
	s_barrier
	v_sub_u32_e32 v5, v68, v0
	ds_read_b32 v1, v69
	ds_read_b32 v2, v5 offset:5760
	s_add_u32 s4, s8, 0x1630
	s_addc_u32 s5, s9, 0
	v_cmp_ne_u32_e32 vcc, 0, v20
	s_waitcnt lgkmcnt(0)
	v_add_f32_e32 v0, v2, v1
	v_sub_f32_e32 v1, v1, v2
                                        ; implicit-def: $vgpr2_vgpr3
	s_and_saveexec_b64 s[10:11], vcc
	s_xor_b64 s[10:11], exec, s[10:11]
	s_cbranch_execz .LBB0_17
; %bb.16:
	v_mov_b32_e32 v21, 0
	v_lshl_add_u64 v[2:3], v[20:21], 3, s[4:5]
	global_load_dwordx2 v[6:7], v[2:3], off
	ds_read_b32 v11, v5 offset:5764
	ds_read_b32 v12, v69 offset:4
	v_mov_b32_e32 v8, v1
	v_mov_b32_e32 v10, v0
	;; [unrolled: 1-line block ×3, first 2 shown]
	v_mov_b64_e32 v[2:3], v[20:21]
	s_waitcnt lgkmcnt(0)
	v_add_f32_e32 v9, v11, v12
	v_sub_f32_e32 v11, v12, v11
	v_mov_b32_e32 v12, v9
	s_waitcnt vmcnt(0)
	v_pk_mul_f32 v[14:15], v[8:9], v[6:7] op_sel:[0,1]
	v_pk_fma_f32 v[8:9], v[8:9], v[6:7], v[10:11] op_sel:[0,1,0]
	v_mov_b32_e32 v1, v15
	v_mov_b32_e32 v15, v11
	v_pk_fma_f32 v[22:23], v[6:7], v[12:13], v[8:9] neg_lo:[1,0,0] neg_hi:[1,0,0]
	v_pk_fma_f32 v[8:9], v[6:7], v[12:13], v[8:9] op_sel_hi:[0,1,1]
	v_pk_add_f32 v[0:1], v[0:1], v[14:15] neg_lo:[0,1] neg_hi:[0,1]
	v_mov_b32_e32 v23, v9
	v_pk_fma_f32 v[0:1], v[6:7], v[12:13], v[0:1] op_sel_hi:[0,1,1]
	ds_write_b64 v5, v[0:1] offset:5760
	v_mov_b64_e32 v[0:1], v[22:23]
.LBB0_17:
	s_andn2_saveexec_b64 s[10:11], s[10:11]
	s_cbranch_execz .LBB0_19
; %bb.18:
	ds_read_b64 v[2:3], v68 offset:2880
	s_mov_b32 s12, 2.0
	s_mov_b32 s13, -2.0
	s_waitcnt lgkmcnt(0)
	v_pk_mul_f32 v[2:3], v[2:3], s[12:13]
	ds_write_b64 v68, v[2:3] offset:2880
	v_mov_b64_e32 v[2:3], 0
.LBB0_19:
	s_or_b64 exec, exec, s[10:11]
	v_lshl_add_u64 v[2:3], v[2:3], 3, s[4:5]
	global_load_dwordx2 v[6:7], v[2:3], off offset:960
	global_load_dwordx2 v[8:9], v[2:3], off offset:1920
	ds_write_b64 v69, v[0:1]
	ds_read_b64 v[0:1], v69 offset:960
	ds_read_b64 v[2:3], v5 offset:4800
	v_lshl_add_u32 v72, v20, 3, 0
	v_lshl_add_u32 v21, v4, 3, v72
	v_add_u32_e32 v4, 0x400, v21
	v_add_u32_e32 v71, 0x800, v21
	s_waitcnt lgkmcnt(0)
	v_pk_add_f32 v[10:11], v[0:1], v[2:3]
	v_pk_add_f32 v[0:1], v[0:1], v[2:3] neg_lo:[0,1] neg_hi:[0,1]
	v_mov_b32_e32 v2, v11
	v_mov_b32_e32 v3, v0
	;; [unrolled: 1-line block ×3, first 2 shown]
	s_mov_b32 s10, 0x3f737871
	s_mov_b32 s4, 0x3f167918
	;; [unrolled: 1-line block ×5, first 2 shown]
	s_waitcnt vmcnt(1)
	v_pk_mul_f32 v[12:13], v[2:3], v[6:7] op_sel:[0,1]
	s_nop 0
	v_pk_add_f32 v[14:15], v[10:11], v[12:13] op_sel:[0,1] op_sel_hi:[1,0]
	v_mov_b32_e32 v11, v12
	v_mov_b32_e32 v0, v13
	v_pk_fma_f32 v[12:13], v[6:7], v[2:3], v[14:15] neg_lo:[1,0,0] neg_hi:[1,0,0]
	v_pk_fma_f32 v[14:15], v[6:7], v[2:3], v[14:15] op_sel_hi:[0,1,1]
	v_pk_add_f32 v[0:1], v[10:11], v[0:1] neg_lo:[0,1] neg_hi:[0,1]
	v_mov_b32_e32 v13, v15
	v_pk_fma_f32 v[0:1], v[6:7], v[2:3], v[0:1] op_sel_hi:[0,1,1]
	ds_write_b64 v69, v[12:13] offset:960
	ds_write_b64 v5, v[0:1] offset:4800
	ds_read_b64 v[0:1], v5 offset:3840
	ds_read_b64 v[2:3], v69 offset:1920
	v_add_u32_e32 v14, 0xc00, v21
	s_waitcnt lgkmcnt(0)
	v_pk_add_f32 v[6:7], v[2:3], v[0:1]
	v_pk_add_f32 v[0:1], v[2:3], v[0:1] neg_lo:[0,1] neg_hi:[0,1]
	v_mov_b32_e32 v2, v7
	v_mov_b32_e32 v3, v0
	;; [unrolled: 1-line block ×3, first 2 shown]
	s_waitcnt vmcnt(0)
	v_pk_mul_f32 v[10:11], v[2:3], v[8:9] op_sel:[0,1]
	s_nop 0
	v_pk_add_f32 v[12:13], v[6:7], v[10:11] op_sel:[0,1] op_sel_hi:[1,0]
	v_mov_b32_e32 v7, v10
	v_mov_b32_e32 v0, v11
	v_pk_fma_f32 v[10:11], v[8:9], v[2:3], v[12:13] neg_lo:[1,0,0] neg_hi:[1,0,0]
	v_pk_fma_f32 v[12:13], v[8:9], v[2:3], v[12:13] op_sel_hi:[0,1,1]
	v_pk_add_f32 v[0:1], v[6:7], v[0:1] neg_lo:[0,1] neg_hi:[0,1]
	v_mov_b32_e32 v11, v13
	v_pk_fma_f32 v[0:1], v[8:9], v[2:3], v[0:1] op_sel_hi:[0,1,1]
	ds_write_b64 v69, v[10:11] offset:1920
	ds_write_b64 v5, v[0:1] offset:3840
	s_waitcnt lgkmcnt(0)
	s_barrier
	s_barrier
	ds_read2_b64 v[0:3], v21 offset0:72 offset1:144
	ds_read2_b64 v[4:7], v4 offset0:88 offset1:160
	;; [unrolled: 1-line block ×4, first 2 shown]
	ds_read_b64 v[32:33], v69
	ds_read_b64 v[30:31], v21 offset:5184
	s_waitcnt lgkmcnt(0)
	v_pk_add_f32 v[28:29], v[2:3], v[6:7] neg_lo:[0,1] neg_hi:[0,1]
	v_pk_add_f32 v[26:27], v[6:7], v[10:11]
	v_pk_add_f32 v[24:25], v[2:3], v[14:15] neg_lo:[0,1] neg_hi:[0,1]
	v_pk_add_f32 v[36:37], v[14:15], v[10:11] neg_lo:[0,1] neg_hi:[0,1]
	v_mov_b32_e32 v40, v8
	v_mov_b32_e32 v41, v12
	;; [unrolled: 1-line block ×4, first 2 shown]
	v_pk_add_f32 v[22:23], v[6:7], v[10:11] neg_lo:[0,1] neg_hi:[0,1]
	v_pk_add_f32 v[38:39], v[4:5], v[30:31] neg_lo:[0,1] neg_hi:[0,1]
	v_pk_add_f32 v[44:45], v[8:9], v[12:13]
	v_mov_b32_e32 v56, v9
	v_mov_b32_e32 v57, v13
	;; [unrolled: 1-line block ×4, first 2 shown]
	v_pk_fma_f32 v[60:61], v[26:27], 0.5, v[32:33] op_sel_hi:[1,0,1] neg_lo:[1,0,0] neg_hi:[1,0,0]
	v_pk_mul_f32 v[62:63], v[24:25], s[10:11] op_sel_hi:[1,0]
	v_pk_add_f32 v[48:49], v[28:29], v[36:37]
	v_pk_add_f32 v[36:37], v[40:41], v[42:43] neg_lo:[0,1] neg_hi:[0,1]
	v_pk_add_f32 v[34:35], v[8:9], v[12:13] neg_lo:[0,1] neg_hi:[0,1]
	;; [unrolled: 1-line block ×4, first 2 shown]
	v_pk_mul_f32 v[46:47], v[22:23], s[4:5] op_sel_hi:[1,0]
	v_pk_fma_f32 v[40:41], v[44:45], 0.5, v[0:1] op_sel_hi:[1,0,1] neg_lo:[1,0,0] neg_hi:[1,0,0]
	v_pk_mul_f32 v[42:43], v[38:39], s[10:11] op_sel_hi:[1,0]
	v_pk_add_f32 v[56:57], v[56:57], v[58:59] neg_lo:[0,1] neg_hi:[0,1]
	v_pk_add_f32 v[26:27], v[60:61], v[62:63] op_sel:[0,1] op_sel_hi:[1,0] neg_lo:[0,1] neg_hi:[0,1]
	v_pk_add_f32 v[28:29], v[60:61], v[62:63] op_sel:[0,1] op_sel_hi:[1,0]
	v_mov_b32_e32 v58, v37
	v_pk_mul_f32 v[50:51], v[34:35], s[4:5] op_sel_hi:[1,0]
	v_pk_add_f32 v[52:53], v[52:53], v[54:55]
	v_pk_add_f32 v[44:45], v[40:41], v[42:43] op_sel:[0,1] op_sel_hi:[1,0] neg_lo:[0,1] neg_hi:[0,1]
	v_pk_add_f32 v[54:55], v[40:41], v[42:43] op_sel:[0,1] op_sel_hi:[1,0]
	v_mov_b32_e32 v40, v57
	v_pk_add_f32 v[42:43], v[26:27], v[46:47] op_sel:[0,1] op_sel_hi:[1,0] neg_lo:[0,1] neg_hi:[0,1]
	v_pk_add_f32 v[58:59], v[36:37], v[58:59]
	v_pk_add_f32 v[36:37], v[28:29], v[46:47] op_sel:[0,1] op_sel_hi:[1,0]
	v_pk_add_f32 v[56:57], v[56:57], v[40:41]
	v_pk_add_f32 v[40:41], v[44:45], v[50:51] op_sel:[0,1] op_sel_hi:[1,0] neg_lo:[0,1] neg_hi:[0,1]
	v_pk_add_f32 v[60:61], v[54:55], v[50:51] op_sel:[0,1] op_sel_hi:[1,0]
	v_mov_b32_e32 v43, v37
	v_mov_b32_e32 v41, v61
	v_pk_fma_f32 v[36:37], v[48:49], s[12:13], v[42:43] op_sel_hi:[1,0,1]
	s_mov_b32 s13, s4
	v_mov_b32_e32 v59, v39
	v_mov_b32_e32 v57, v38
	v_pk_fma_f32 v[38:39], v[52:53], s[12:13], v[40:41] op_sel_hi:[1,0,1]
	v_pk_mul_f32 v[22:23], v[22:23], s[10:11] op_sel_hi:[1,0]
	v_pk_mul_f32 v[40:41], v[38:39], s[4:5] op_sel_hi:[1,0]
	;; [unrolled: 1-line block ×3, first 2 shown]
	v_pk_fma_f32 v[42:43], v[38:39], s[14:15], v[40:41] op_sel:[0,0,1] op_sel_hi:[1,0,0] neg_lo:[0,0,1] neg_hi:[0,0,1]
	v_pk_fma_f32 v[38:39], v[38:39], s[14:15], v[40:41] op_sel:[0,0,1] op_sel_hi:[1,0,0]
	v_pk_add_f32 v[62:63], v[10:11], v[14:15] neg_lo:[0,1] neg_hi:[0,1]
	v_mov_b32_e32 v43, v39
	v_pk_add_f32 v[38:39], v[2:3], v[14:15]
	v_pk_mul_f32 v[64:65], v[56:57], s[12:13]
	v_pk_fma_f32 v[40:41], v[38:39], 0.5, v[32:33] op_sel_hi:[1,0,1] neg_lo:[1,0,0] neg_hi:[1,0,0]
	s_mov_b32 s11, s12
	v_pk_add_f32 v[38:39], v[40:41], v[22:23] op_sel:[0,1] op_sel_hi:[1,0]
	v_pk_add_f32 v[40:41], v[40:41], v[22:23] op_sel:[0,1] op_sel_hi:[1,0] neg_lo:[0,1] neg_hi:[0,1]
	v_pk_add_f32 v[22:23], v[38:39], v[60:61] op_sel:[0,1] op_sel_hi:[1,0] neg_lo:[0,1] neg_hi:[0,1]
	v_pk_add_f32 v[24:25], v[40:41], v[60:61] op_sel:[0,1] op_sel_hi:[1,0]
	s_movk_i32 s5, 0x48
	v_mov_b32_e32 v23, v25
	v_pk_add_f32 v[24:25], v[6:7], v[2:3] neg_lo:[0,1] neg_hi:[0,1]
	v_cmp_gt_u32_e32 vcc, s5, v20
	v_pk_add_f32 v[66:67], v[24:25], v[62:63]
	v_pk_add_f32 v[24:25], v[4:5], v[30:31]
	v_pk_mul_f32 v[62:63], v[58:59], s[12:13]
	v_fma_f32 v73, -0.5, v25, v1
	v_fma_f32 v74, -0.5, v24, v0
	v_fmamk_f32 v25, v34, 0xbf737871, v73
	v_fmamk_f32 v24, v35, 0x3f737871, v74
	v_add_f32_e32 v25, v65, v25
	v_sub_f32_e32 v24, v24, v63
	v_pk_fma_f32 v[56:57], v[66:67], s[12:13], v[22:23] op_sel_hi:[1,0,1]
	v_add_f32_e32 v22, v64, v25
	s_mov_b32 s13, s10
	v_pk_mul_f32 v[22:23], v[22:23], s[10:11] op_sel_hi:[0,1]
	v_add_f32_e32 v24, v62, v24
	v_pk_fma_f32 v[58:59], v[24:25], s[12:13], v[22:23] neg_lo:[0,0,1] neg_hi:[0,0,1]
	v_pk_fma_f32 v[22:23], v[24:25], s[12:13], v[22:23] op_sel_hi:[0,1,1]
	v_mov_b32_e32 v59, v23
	v_pk_add_f32 v[24:25], v[36:37], v[42:43] neg_lo:[0,1] neg_hi:[0,1]
	v_pk_add_f32 v[22:23], v[56:57], v[58:59] neg_lo:[0,1] neg_hi:[0,1]
	s_barrier
	s_and_saveexec_b64 s[14:15], vcc
	s_cbranch_execz .LBB0_21
; %bb.20:
	v_mov_b32_e32 v76, v47
	v_mov_b32_e32 v77, v46
	v_pk_mul_f32 v[46:47], v[48:49], s[12:13] op_sel_hi:[1,0]
	v_mov_b32_e32 v48, v51
	v_mov_b32_e32 v49, v50
	v_mul_f32_e32 v78, 0x3f737871, v34
	v_pk_add_f32 v[2:3], v[32:33], v[2:3]
	v_pk_add_f32 v[0:1], v[0:1], v[4:5]
	;; [unrolled: 1-line block ×3, first 2 shown]
	v_pk_add_f32 v[44:45], v[44:45], v[48:49] neg_lo:[0,1] neg_hi:[0,1]
	v_add_f32_e32 v49, v78, v73
	v_pk_add_f32 v[2:3], v[2:3], v[6:7]
	v_pk_add_f32 v[0:1], v[0:1], v[8:9]
	v_pk_mul_f32 v[50:51], v[52:53], s[12:13] op_sel_hi:[1,0]
	v_sub_f32_e32 v49, v49, v65
	v_pk_add_f32 v[2:3], v[2:3], v[10:11]
	v_pk_add_f32 v[0:1], v[0:1], v[12:13]
	v_mul_f32_e32 v75, 0x3f737871, v35
	v_pk_add_f32 v[54:55], v[50:51], v[54:55]
	v_pk_add_f32 v[44:45], v[50:51], v[44:45]
	v_add_f32_e32 v50, v64, v49
	v_mul_u32_u24_e32 v49, 0x48, v20
	v_pk_add_f32 v[2:3], v[2:3], v[14:15]
	v_pk_add_f32 v[0:1], v[0:1], v[30:31]
	v_mov_b32_e32 v34, v61
	v_mov_b32_e32 v35, v60
	v_pk_mul_f32 v[52:53], v[66:67], s[12:13] op_sel_hi:[1,0]
	v_sub_f32_e32 v48, v74, v75
	v_add3_u32 v49, v72, v49, v70
	v_pk_add_f32 v[4:5], v[2:3], v[0:1]
	v_pk_add_f32 v[6:7], v[36:37], v[42:43]
	s_mov_b32 s12, 0xbe9e377a
	v_add_f32_e32 v48, v63, v48
	ds_write2_b64 v49, v[4:5], v[6:7] offset1:1
	v_pk_add_f32 v[6:7], v[40:41], v[34:35]
	v_pk_add_f32 v[8:9], v[38:39], v[34:35] neg_lo:[0,1] neg_hi:[0,1]
	s_mov_b32 s17, s12
	v_add_f32_e32 v48, v62, v48
	v_mov_b32_e32 v7, v9
	s_mov_b32 s13, s10
	v_pk_mul_f32 v[8:9], v[50:51], s[16:17] op_sel_hi:[0,1]
	v_pk_add_f32 v[6:7], v[52:53], v[6:7]
	v_pk_fma_f32 v[8:9], v[48:49], s[12:13], v[8:9] op_sel_hi:[0,1,1]
	v_pk_add_f32 v[4:5], v[56:57], v[58:59]
	v_pk_add_f32 v[10:11], v[6:7], v[8:9]
	s_mov_b32 s10, 0xbf4f1bbd
	ds_write2_b64 v49, v[4:5], v[10:11] offset0:2 offset1:3
	v_pk_add_f32 v[4:5], v[28:29], v[76:77]
	v_pk_add_f32 v[10:11], v[26:27], v[76:77] neg_lo:[0,1] neg_hi:[0,1]
	s_mov_b32 s11, s4
	s_mov_b32 s4, 0xbf167918
	;; [unrolled: 1-line block ×3, first 2 shown]
	v_mov_b32_e32 v5, v11
	v_pk_mul_f32 v[10:11], v[44:45], s[4:5] op_sel:[1,0]
	v_pk_add_f32 v[4:5], v[46:47], v[4:5]
	v_pk_fma_f32 v[10:11], v[54:55], s[10:11], v[10:11] op_sel_hi:[0,1,1]
	v_pk_add_f32 v[12:13], v[4:5], v[10:11]
	v_pk_add_f32 v[0:1], v[2:3], v[0:1] neg_lo:[0,1] neg_hi:[0,1]
	ds_write2_b64 v49, v[12:13], v[0:1] offset0:4 offset1:5
	ds_write2_b64 v49, v[24:25], v[22:23] offset0:6 offset1:7
	v_pk_add_f32 v[0:1], v[6:7], v[8:9] neg_lo:[0,1] neg_hi:[0,1]
	v_pk_add_f32 v[2:3], v[4:5], v[10:11] neg_lo:[0,1] neg_hi:[0,1]
	ds_write2_b64 v49, v[0:1], v[2:3] offset0:8 offset1:9
.LBB0_21:
	s_or_b64 exec, exec, s[14:15]
	s_movk_i32 s4, 0xcd
	v_add_u32_e32 v14, 0x78, v20
	v_mul_lo_u16_sdwa v0, v20, s4 dst_sel:DWORD dst_unused:UNUSED_PAD src0_sel:BYTE_0 src1_sel:DWORD
	v_lshrrev_b16_e32 v15, 11, v0
	v_mul_lo_u16_sdwa v1, v14, s4 dst_sel:DWORD dst_unused:UNUSED_PAD src0_sel:BYTE_0 src1_sel:DWORD
	v_mul_lo_u16_e32 v0, 10, v15
	v_lshrrev_b16_e32 v32, 11, v1
	v_sub_u16_e32 v33, v20, v0
	v_mov_b32_e32 v4, 4
	v_mul_lo_u16_e32 v1, 10, v32
	v_lshlrev_b32_sdwa v0, v4, v33 dst_sel:DWORD dst_unused:UNUSED_PAD src0_sel:DWORD src1_sel:BYTE_0
	v_sub_u16_e32 v34, v14, v1
	s_waitcnt lgkmcnt(0)
	s_barrier
	global_load_dwordx4 v[0:3], v0, s[8:9]
	v_lshlrev_b32_sdwa v4, v4, v34 dst_sel:DWORD dst_unused:UNUSED_PAD src0_sel:DWORD src1_sel:BYTE_0
	global_load_dwordx4 v[4:7], v4, s[8:9]
	ds_read2_b64 v[8:11], v21 offset0:120 offset1:240
	ds_read2_b64 v[26:29], v71 offset0:104 offset1:224
	ds_read_b64 v[12:13], v21 offset:4800
	ds_read_b64 v[30:31], v69
	s_movk_i32 s5, 0xf0
	v_mov_b32_e32 v35, 3
	v_mad_u32_u24 v36, v32, s5, 0
	v_lshlrev_b32_sdwa v34, v35, v34 dst_sel:DWORD dst_unused:UNUSED_PAD src0_sel:DWORD src1_sel:BYTE_0
	v_mad_u32_u24 v15, v15, s5, 0
	s_waitcnt lgkmcnt(3)
	v_mov_b32_e32 v32, v11
	v_lshlrev_b32_sdwa v33, v35, v33 dst_sel:DWORD dst_unused:UNUSED_PAD src0_sel:DWORD src1_sel:BYTE_0
	v_add3_u32 v42, v36, v34, v70
	v_add3_u32 v15, v15, v33, v70
	s_mov_b32 s4, 0x3f5db3d7
	s_movk_i32 s10, 0x5a
	v_cmp_gt_u32_e32 vcc, s10, v20
	s_waitcnt lgkmcnt(0)
	s_barrier
	s_waitcnt vmcnt(1)
	v_pk_mul_f32 v[34:35], v[0:1], v[10:11] op_sel_hi:[1,0]
	v_pk_mul_f32 v[36:37], v[2:3], v[28:29] op_sel:[0,1]
	s_waitcnt vmcnt(0)
	v_pk_mul_f32 v[38:39], v[4:5], v[26:27] op_sel:[0,1]
	v_pk_mul_f32 v[40:41], v[6:7], v[12:13] op_sel:[0,1]
	v_pk_fma_f32 v[32:33], v[0:1], v[32:33], v[34:35] op_sel:[1,0,0] op_sel_hi:[0,1,1]
	v_pk_fma_f32 v[0:1], v[0:1], v[10:11], v[34:35] op_sel:[1,1,0] op_sel_hi:[0,1,1] neg_lo:[0,0,1] neg_hi:[0,0,1]
	v_pk_fma_f32 v[10:11], v[2:3], v[28:29], v[36:37] op_sel:[0,0,1] op_sel_hi:[1,1,0]
	v_pk_fma_f32 v[2:3], v[2:3], v[28:29], v[36:37] op_sel:[0,0,1] op_sel_hi:[1,0,0] neg_lo:[1,0,0] neg_hi:[1,0,0]
	;; [unrolled: 2-line block ×4, first 2 shown]
	v_mov_b32_e32 v33, v1
	v_mov_b32_e32 v11, v3
	v_mov_b32_e32 v29, v5
	v_mov_b32_e32 v27, v7
	v_pk_add_f32 v[0:1], v[30:31], v[32:33]
	v_pk_add_f32 v[6:7], v[32:33], v[10:11]
	v_pk_add_f32 v[32:33], v[32:33], v[10:11] neg_lo:[0,1] neg_hi:[0,1]
	v_pk_add_f32 v[2:3], v[8:9], v[28:29]
	v_pk_add_f32 v[34:35], v[28:29], v[26:27]
	v_pk_add_f32 v[28:29], v[28:29], v[26:27] neg_lo:[0,1] neg_hi:[0,1]
	v_pk_add_f32 v[12:13], v[0:1], v[10:11]
	v_pk_fma_f32 v[0:1], v[6:7], 0.5, v[30:31] op_sel_hi:[1,0,1] neg_lo:[1,0,0] neg_hi:[1,0,0]
	v_pk_mul_f32 v[6:7], v[32:33], s[4:5] op_sel_hi:[1,0]
	v_pk_add_f32 v[4:5], v[2:3], v[26:27]
	v_pk_fma_f32 v[10:11], v[34:35], 0.5, v[8:9] op_sel_hi:[1,0,1] neg_lo:[1,0,0] neg_hi:[1,0,0]
	v_pk_mul_f32 v[26:27], v[28:29], s[4:5] op_sel_hi:[1,0]
	v_pk_add_f32 v[2:3], v[0:1], v[6:7] op_sel:[0,1] op_sel_hi:[1,0] neg_lo:[0,1] neg_hi:[0,1]
	v_pk_add_f32 v[6:7], v[0:1], v[6:7] op_sel:[0,1] op_sel_hi:[1,0]
	v_pk_add_f32 v[8:9], v[10:11], v[26:27] op_sel:[0,1] op_sel_hi:[1,0] neg_lo:[0,1] neg_hi:[0,1]
	v_pk_add_f32 v[10:11], v[10:11], v[26:27] op_sel:[0,1] op_sel_hi:[1,0]
	v_mov_b32_e32 v0, v2
	v_mov_b32_e32 v1, v7
	;; [unrolled: 1-line block ×8, first 2 shown]
	ds_write2_b64 v15, v[12:13], v[0:1] offset1:10
	ds_write_b64 v15, v[26:27] offset:160
	ds_write2_b64 v42, v[4:5], v[28:29] offset1:10
	ds_write_b64 v42, v[30:31] offset:160
	s_waitcnt lgkmcnt(0)
	s_barrier
	s_and_saveexec_b64 s[4:5], vcc
	s_cbranch_execz .LBB0_23
; %bb.22:
	v_add_u32_e32 v4, 0xc00, v21
	ds_read2_b64 v[0:3], v21 offset0:90 offset1:180
	ds_read2_b64 v[8:11], v4 offset0:66 offset1:156
	v_add_u32_e32 v4, 0x800, v21
	ds_read2_b64 v[4:7], v4 offset0:14 offset1:104
	ds_read_b64 v[12:13], v69
	ds_read_b64 v[22:23], v21 offset:5040
	s_waitcnt lgkmcnt(3)
	v_mov_b32_e32 v25, v11
	v_mov_b32_e32 v24, v10
	;; [unrolled: 1-line block ×3, first 2 shown]
	s_waitcnt lgkmcnt(2)
	v_mov_b32_e32 v11, v7
	v_mov_b32_e32 v8, v6
	;; [unrolled: 1-line block ×5, first 2 shown]
.LBB0_23:
	s_or_b64 exec, exec, s[4:5]
	s_waitcnt lgkmcnt(0)
	s_barrier
	s_and_saveexec_b64 s[4:5], vcc
	s_cbranch_execz .LBB0_25
; %bb.24:
	s_movk_i32 s10, 0x89
	v_mul_lo_u16_sdwa v0, v20, s10 dst_sel:DWORD dst_unused:UNUSED_PAD src0_sel:BYTE_0 src1_sel:DWORD
	v_lshrrev_b16_e32 v15, 12, v0
	v_mul_lo_u16_e32 v0, 30, v15
	v_sub_u16_e32 v39, v20, v0
	v_mov_b32_e32 v0, 7
	v_mul_u32_u24_sdwa v0, v39, v0 dst_sel:DWORD dst_unused:UNUSED_PAD src0_sel:BYTE_0 src1_sel:DWORD
	v_lshlrev_b32_e32 v38, 3, v0
	global_load_dwordx4 v[26:29], v38, s[8:9] offset:176
	global_load_dwordx4 v[30:33], v38, s[8:9] offset:160
	global_load_dwordx4 v[34:37], v38, s[8:9] offset:192
	global_load_dwordx2 v[0:1], v38, s[8:9] offset:208
	v_mov_b32_e32 v38, v11
	v_mov_b32_e32 v40, v3
	;; [unrolled: 1-line block ×7, first 2 shown]
	s_movk_i32 s11, 0x780
	v_mov_b32_e32 v3, 3
	v_mad_u32_u24 v5, v15, s11, 0
	v_lshlrev_b32_sdwa v3, v3, v39 dst_sel:DWORD dst_unused:UNUSED_PAD src0_sel:DWORD src1_sel:BYTE_0
	v_add3_u32 v15, v5, v3, v70
	s_mov_b32 s10, 0x3f3504f3
	s_waitcnt vmcnt(3)
	v_pk_mul_f32 v[38:39], v[38:39], v[28:29] op_sel_hi:[0,1]
	s_waitcnt vmcnt(2)
	v_pk_mul_f32 v[40:41], v[40:41], v[32:33] op_sel_hi:[0,1]
	;; [unrolled: 2-line block ×3, first 2 shown]
	v_pk_mul_f32 v[44:45], v[44:45], v[30:31] op_sel_hi:[0,1]
	v_pk_mul_f32 v[46:47], v[46:47], v[34:35] op_sel_hi:[0,1]
	;; [unrolled: 1-line block ×3, first 2 shown]
	s_waitcnt vmcnt(0)
	v_pk_mul_f32 v[50:51], v[50:51], v[0:1] op_sel_hi:[0,1]
	v_pk_fma_f32 v[52:53], v[6:7], v[32:33], v[40:41] op_sel:[0,0,1] op_sel_hi:[1,1,0]
	v_pk_fma_f32 v[6:7], v[6:7], v[32:33], v[40:41] op_sel:[0,0,1] op_sel_hi:[0,1,0] neg_lo:[1,0,0] neg_hi:[1,0,0]
	v_pk_fma_f32 v[32:33], v[24:25], v[36:37], v[42:43] op_sel:[0,0,1] op_sel_hi:[1,1,0]
	v_pk_fma_f32 v[24:25], v[24:25], v[36:37], v[42:43] op_sel:[0,0,1] op_sel_hi:[0,1,0] neg_lo:[1,0,0] neg_hi:[1,0,0]
	;; [unrolled: 2-line block ×7, first 2 shown]
	v_mov_b32_e32 v53, v7
	v_mov_b32_e32 v33, v25
	;; [unrolled: 1-line block ×7, first 2 shown]
	v_pk_add_f32 v[0:1], v[52:53], v[32:33] neg_lo:[0,1] neg_hi:[0,1]
	v_pk_add_f32 v[2:3], v[12:13], v[36:37] neg_lo:[0,1] neg_hi:[0,1]
	;; [unrolled: 1-line block ×4, first 2 shown]
	v_pk_fma_f32 v[8:9], v[12:13], 2.0, v[2:3] op_sel_hi:[1,0,1] neg_lo:[0,0,1] neg_hi:[0,0,1]
	v_pk_fma_f32 v[10:11], v[52:53], 2.0, v[0:1] op_sel_hi:[1,0,1] neg_lo:[0,0,1] neg_hi:[0,0,1]
	;; [unrolled: 1-line block ×4, first 2 shown]
	v_pk_add_f32 v[24:25], v[2:3], v[0:1] op_sel:[0,1] op_sel_hi:[1,0]
	v_pk_add_f32 v[0:1], v[2:3], v[0:1] op_sel:[0,1] op_sel_hi:[1,0] neg_lo:[0,1] neg_hi:[0,1]
	v_pk_add_f32 v[26:27], v[6:7], v[4:5] op_sel:[0,1] op_sel_hi:[1,0]
	v_pk_add_f32 v[4:5], v[6:7], v[4:5] op_sel:[0,1] op_sel_hi:[1,0] neg_lo:[0,1] neg_hi:[0,1]
	v_pk_add_f32 v[10:11], v[8:9], v[10:11] neg_lo:[0,1] neg_hi:[0,1]
	v_pk_add_f32 v[22:23], v[12:13], v[22:23] neg_lo:[0,1] neg_hi:[0,1]
	v_mov_b32_e32 v25, v1
	v_mov_b32_e32 v27, v5
	v_pk_fma_f32 v[0:1], v[8:9], 2.0, v[10:11] op_sel_hi:[1,0,1] neg_lo:[0,0,1] neg_hi:[0,0,1]
	v_pk_fma_f32 v[4:5], v[12:13], 2.0, v[22:23] op_sel_hi:[1,0,1] neg_lo:[0,0,1] neg_hi:[0,0,1]
	;; [unrolled: 1-line block ×4, first 2 shown]
	v_pk_add_f32 v[8:9], v[10:11], v[22:23] op_sel:[0,1] op_sel_hi:[1,0]
	v_pk_add_f32 v[12:13], v[10:11], v[22:23] op_sel:[0,1] op_sel_hi:[1,0] neg_lo:[0,1] neg_hi:[0,1]
	v_pk_mul_f32 v[22:23], v[26:27], s[10:11] op_sel_hi:[1,0]
	v_pk_fma_f32 v[26:27], v[26:27], s[10:11], v[24:25] op_sel_hi:[1,0,1]
	v_pk_mul_f32 v[28:29], v[6:7], s[10:11] op_sel_hi:[1,0]
	v_pk_fma_f32 v[6:7], v[6:7], s[10:11], v[2:3] op_sel_hi:[1,0,1] neg_lo:[1,0,0] neg_hi:[1,0,0]
	v_mov_b32_e32 v9, v13
	v_pk_add_f32 v[12:13], v[26:27], v[22:23] op_sel:[0,1] op_sel_hi:[1,0]
	v_pk_add_f32 v[22:23], v[26:27], v[22:23] op_sel:[0,1] op_sel_hi:[1,0] neg_lo:[0,1] neg_hi:[0,1]
	v_pk_add_f32 v[26:27], v[6:7], v[28:29] op_sel:[0,1] op_sel_hi:[1,0]
	v_pk_add_f32 v[6:7], v[6:7], v[28:29] op_sel:[0,1] op_sel_hi:[1,0] neg_lo:[0,1] neg_hi:[0,1]
	v_mov_b32_e32 v13, v23
	v_pk_add_f32 v[4:5], v[0:1], v[4:5] neg_lo:[0,1] neg_hi:[0,1]
	v_pk_fma_f32 v[10:11], v[10:11], 2.0, v[8:9] op_sel_hi:[1,0,1] neg_lo:[0,0,1] neg_hi:[0,0,1]
	v_mov_b32_e32 v27, v7
	v_pk_fma_f32 v[6:7], v[24:25], 2.0, v[12:13] op_sel_hi:[1,0,1] neg_lo:[0,0,1] neg_hi:[0,0,1]
	v_pk_fma_f32 v[0:1], v[0:1], 2.0, v[4:5] op_sel_hi:[1,0,1] neg_lo:[0,0,1] neg_hi:[0,0,1]
	;; [unrolled: 1-line block ×3, first 2 shown]
	ds_write2_b64 v15, v[10:11], v[6:7] offset0:60 offset1:90
	ds_write2_b64 v15, v[4:5], v[26:27] offset0:120 offset1:150
	ds_write2_b64 v15, v[0:1], v[2:3] offset1:30
	ds_write2_b64 v15, v[8:9], v[12:13] offset0:180 offset1:210
.LBB0_25:
	s_or_b64 exec, exec, s[4:5]
	v_lshlrev_b32_e32 v0, 1, v20
	v_mov_b32_e32 v1, 0
	v_lshl_add_u64 v[2:3], v[0:1], 3, s[8:9]
	v_lshlrev_b32_e32 v0, 1, v14
	s_waitcnt lgkmcnt(0)
	s_barrier
	global_load_dwordx4 v[2:5], v[2:3], off offset:1840
	v_lshl_add_u64 v[6:7], v[0:1], 3, s[8:9]
	global_load_dwordx4 v[6:9], v[6:7], off offset:1840
	v_add_u32_e32 v0, 0x800, v21
	ds_read2_b64 v[10:13], v21 offset0:120 offset1:240
	ds_read_b64 v[14:15], v69
	ds_read_b64 v[26:27], v21 offset:4800
	ds_read2_b64 v[22:25], v0 offset0:104 offset1:224
	s_mov_b32 s4, 0x3f5db3d7
	v_add_u32_e32 v34, 0x780, v21
	s_waitcnt lgkmcnt(0)
	s_barrier
	v_add_u32_e32 v35, 0xb00, v21
	s_waitcnt vmcnt(1)
	v_pk_mul_f32 v[28:29], v[2:3], v[12:13] op_sel:[0,1]
	v_pk_mul_f32 v[30:31], v[4:5], v[24:25] op_sel:[0,1]
	v_pk_fma_f32 v[32:33], v[2:3], v[12:13], v[28:29] op_sel:[0,0,1] op_sel_hi:[1,1,0]
	v_pk_fma_f32 v[2:3], v[2:3], v[12:13], v[28:29] op_sel:[0,0,1] op_sel_hi:[1,0,0] neg_lo:[1,0,0] neg_hi:[1,0,0]
	v_pk_fma_f32 v[12:13], v[4:5], v[24:25], v[30:31] op_sel:[0,0,1] op_sel_hi:[1,1,0]
	v_pk_fma_f32 v[4:5], v[4:5], v[24:25], v[30:31] op_sel:[0,0,1] op_sel_hi:[1,0,0] neg_lo:[1,0,0] neg_hi:[1,0,0]
	s_waitcnt vmcnt(0)
	v_pk_mul_f32 v[24:25], v[6:7], v[22:23] op_sel:[0,1]
	v_pk_mul_f32 v[28:29], v[8:9], v[26:27] op_sel:[0,1]
	v_mov_b32_e32 v33, v3
	v_mov_b32_e32 v13, v5
	v_pk_fma_f32 v[2:3], v[6:7], v[22:23], v[24:25] op_sel:[0,0,1] op_sel_hi:[1,1,0]
	v_pk_fma_f32 v[4:5], v[6:7], v[22:23], v[24:25] op_sel:[0,0,1] op_sel_hi:[1,0,0] neg_lo:[1,0,0] neg_hi:[1,0,0]
	v_pk_fma_f32 v[6:7], v[8:9], v[26:27], v[28:29] op_sel:[0,0,1] op_sel_hi:[1,1,0]
	v_pk_fma_f32 v[8:9], v[8:9], v[26:27], v[28:29] op_sel:[0,0,1] op_sel_hi:[1,0,0] neg_lo:[1,0,0] neg_hi:[1,0,0]
	v_pk_add_f32 v[22:23], v[32:33], v[14:15]
	v_mov_b32_e32 v3, v5
	v_mov_b32_e32 v7, v9
	v_pk_add_f32 v[4:5], v[32:33], v[12:13]
	v_pk_add_f32 v[8:9], v[32:33], v[12:13] neg_lo:[0,1] neg_hi:[0,1]
	v_pk_add_f32 v[12:13], v[22:23], v[12:13]
	v_pk_add_f32 v[22:23], v[10:11], v[2:3]
	v_pk_fma_f32 v[4:5], v[4:5], 0.5, v[14:15] op_sel_hi:[1,0,1] neg_lo:[1,0,0] neg_hi:[1,0,0]
	v_pk_mul_f32 v[8:9], v[8:9], s[4:5] op_sel_hi:[1,0]
	v_pk_add_f32 v[14:15], v[2:3], v[6:7]
	v_pk_add_f32 v[2:3], v[2:3], v[6:7] neg_lo:[0,1] neg_hi:[0,1]
	v_pk_add_f32 v[6:7], v[22:23], v[6:7]
	v_pk_add_f32 v[22:23], v[4:5], v[8:9] op_sel:[0,1] op_sel_hi:[1,0] neg_lo:[0,1] neg_hi:[0,1]
	v_pk_add_f32 v[4:5], v[4:5], v[8:9] op_sel:[0,1] op_sel_hi:[1,0]
	v_pk_fma_f32 v[8:9], v[14:15], 0.5, v[10:11] op_sel_hi:[1,0,1] neg_lo:[1,0,0] neg_hi:[1,0,0]
	v_pk_mul_f32 v[2:3], v[2:3], s[4:5] op_sel_hi:[1,0]
	v_mov_b32_e32 v10, v22
	v_mov_b32_e32 v11, v5
	;; [unrolled: 1-line block ×3, first 2 shown]
	ds_write2_b64 v21, v[12:13], v[6:7] offset1:120
	v_pk_add_f32 v[6:7], v[8:9], v[2:3] op_sel:[0,1] op_sel_hi:[1,0] neg_lo:[0,1] neg_hi:[0,1]
	v_pk_add_f32 v[2:3], v[8:9], v[2:3] op_sel:[0,1] op_sel_hi:[1,0]
	ds_write2_b64 v34, v[10:11], v[4:5] offset1:240
	v_mov_b32_e32 v4, v6
	v_mov_b32_e32 v5, v3
	;; [unrolled: 1-line block ×3, first 2 shown]
	ds_write2_b64 v35, v[4:5], v[2:3] offset0:8 offset1:248
	s_waitcnt lgkmcnt(0)
	s_barrier
	s_and_saveexec_b64 s[4:5], s[0:1]
	s_cbranch_execz .LBB0_27
; %bb.26:
	v_mul_lo_u32 v0, s3, v18
	v_mul_lo_u32 v2, s2, v19
	v_mad_u64_u32 v[6:7], s[0:1], s2, v18, 0
	v_lshl_add_u32 v12, v20, 3, v68
	v_add3_u32 v7, v7, v2, v0
	ds_read2_b64 v[2:5], v12 offset1:120
	v_lshl_add_u64 v[6:7], v[6:7], 3, s[6:7]
	v_mov_b32_e32 v21, v1
	v_lshl_add_u64 v[10:11], v[16:17], 3, v[6:7]
	v_lshl_add_u64 v[6:7], v[20:21], 3, v[10:11]
	s_waitcnt lgkmcnt(0)
	global_store_dwordx2 v[6:7], v[2:3], off
	v_add_u32_e32 v2, 0x400, v12
	ds_read2_b64 v[6:9], v2 offset0:112 offset1:232
	v_add_u32_e32 v0, 0x78, v20
	v_lshl_add_u64 v[2:3], v[0:1], 3, v[10:11]
	v_add_u32_e32 v0, 0xf0, v20
	global_store_dwordx2 v[2:3], v[4:5], off
	v_lshl_add_u64 v[2:3], v[0:1], 3, v[10:11]
	s_waitcnt lgkmcnt(0)
	global_store_dwordx2 v[2:3], v[6:7], off
	v_add_u32_e32 v2, 0xc00, v12
	ds_read2_b64 v[2:5], v2 offset0:96 offset1:216
	v_add_u32_e32 v0, 0x168, v20
	v_lshl_add_u64 v[6:7], v[0:1], 3, v[10:11]
	v_add_u32_e32 v0, 0x1e0, v20
	global_store_dwordx2 v[6:7], v[8:9], off
	v_lshl_add_u64 v[6:7], v[0:1], 3, v[10:11]
	v_add_u32_e32 v0, 0x258, v20
	v_lshl_add_u64 v[0:1], v[0:1], 3, v[10:11]
	s_waitcnt lgkmcnt(0)
	global_store_dwordx2 v[6:7], v[2:3], off
	global_store_dwordx2 v[0:1], v[4:5], off
.LBB0_27:
	s_endpgm
	.section	.rodata,"a",@progbits
	.p2align	6, 0x0
	.amdhsa_kernel fft_rtc_back_len720_factors_10_3_8_3_wgs_240_tpt_120_halfLds_sp_op_CI_CI_unitstride_sbrr_C2R_dirReg
		.amdhsa_group_segment_fixed_size 0
		.amdhsa_private_segment_fixed_size 0
		.amdhsa_kernarg_size 104
		.amdhsa_user_sgpr_count 2
		.amdhsa_user_sgpr_dispatch_ptr 0
		.amdhsa_user_sgpr_queue_ptr 0
		.amdhsa_user_sgpr_kernarg_segment_ptr 1
		.amdhsa_user_sgpr_dispatch_id 0
		.amdhsa_user_sgpr_kernarg_preload_length 0
		.amdhsa_user_sgpr_kernarg_preload_offset 0
		.amdhsa_user_sgpr_private_segment_size 0
		.amdhsa_uses_dynamic_stack 0
		.amdhsa_enable_private_segment 0
		.amdhsa_system_sgpr_workgroup_id_x 1
		.amdhsa_system_sgpr_workgroup_id_y 0
		.amdhsa_system_sgpr_workgroup_id_z 0
		.amdhsa_system_sgpr_workgroup_info 0
		.amdhsa_system_vgpr_workitem_id 0
		.amdhsa_next_free_vgpr 79
		.amdhsa_next_free_sgpr 28
		.amdhsa_accum_offset 80
		.amdhsa_reserve_vcc 1
		.amdhsa_float_round_mode_32 0
		.amdhsa_float_round_mode_16_64 0
		.amdhsa_float_denorm_mode_32 3
		.amdhsa_float_denorm_mode_16_64 3
		.amdhsa_dx10_clamp 1
		.amdhsa_ieee_mode 1
		.amdhsa_fp16_overflow 0
		.amdhsa_tg_split 0
		.amdhsa_exception_fp_ieee_invalid_op 0
		.amdhsa_exception_fp_denorm_src 0
		.amdhsa_exception_fp_ieee_div_zero 0
		.amdhsa_exception_fp_ieee_overflow 0
		.amdhsa_exception_fp_ieee_underflow 0
		.amdhsa_exception_fp_ieee_inexact 0
		.amdhsa_exception_int_div_zero 0
	.end_amdhsa_kernel
	.text
.Lfunc_end0:
	.size	fft_rtc_back_len720_factors_10_3_8_3_wgs_240_tpt_120_halfLds_sp_op_CI_CI_unitstride_sbrr_C2R_dirReg, .Lfunc_end0-fft_rtc_back_len720_factors_10_3_8_3_wgs_240_tpt_120_halfLds_sp_op_CI_CI_unitstride_sbrr_C2R_dirReg
                                        ; -- End function
	.section	.AMDGPU.csdata,"",@progbits
; Kernel info:
; codeLenInByte = 5340
; NumSgprs: 34
; NumVgprs: 79
; NumAgprs: 0
; TotalNumVgprs: 79
; ScratchSize: 0
; MemoryBound: 0
; FloatMode: 240
; IeeeMode: 1
; LDSByteSize: 0 bytes/workgroup (compile time only)
; SGPRBlocks: 4
; VGPRBlocks: 9
; NumSGPRsForWavesPerEU: 34
; NumVGPRsForWavesPerEU: 79
; AccumOffset: 80
; Occupancy: 6
; WaveLimiterHint : 1
; COMPUTE_PGM_RSRC2:SCRATCH_EN: 0
; COMPUTE_PGM_RSRC2:USER_SGPR: 2
; COMPUTE_PGM_RSRC2:TRAP_HANDLER: 0
; COMPUTE_PGM_RSRC2:TGID_X_EN: 1
; COMPUTE_PGM_RSRC2:TGID_Y_EN: 0
; COMPUTE_PGM_RSRC2:TGID_Z_EN: 0
; COMPUTE_PGM_RSRC2:TIDIG_COMP_CNT: 0
; COMPUTE_PGM_RSRC3_GFX90A:ACCUM_OFFSET: 19
; COMPUTE_PGM_RSRC3_GFX90A:TG_SPLIT: 0
	.text
	.p2alignl 6, 3212836864
	.fill 256, 4, 3212836864
	.type	__hip_cuid_17b5b6d547cb74c2,@object ; @__hip_cuid_17b5b6d547cb74c2
	.section	.bss,"aw",@nobits
	.globl	__hip_cuid_17b5b6d547cb74c2
__hip_cuid_17b5b6d547cb74c2:
	.byte	0                               ; 0x0
	.size	__hip_cuid_17b5b6d547cb74c2, 1

	.ident	"AMD clang version 19.0.0git (https://github.com/RadeonOpenCompute/llvm-project roc-6.4.0 25133 c7fe45cf4b819c5991fe208aaa96edf142730f1d)"
	.section	".note.GNU-stack","",@progbits
	.addrsig
	.addrsig_sym __hip_cuid_17b5b6d547cb74c2
	.amdgpu_metadata
---
amdhsa.kernels:
  - .agpr_count:     0
    .args:
      - .actual_access:  read_only
        .address_space:  global
        .offset:         0
        .size:           8
        .value_kind:     global_buffer
      - .offset:         8
        .size:           8
        .value_kind:     by_value
      - .actual_access:  read_only
        .address_space:  global
        .offset:         16
        .size:           8
        .value_kind:     global_buffer
      - .actual_access:  read_only
        .address_space:  global
        .offset:         24
        .size:           8
        .value_kind:     global_buffer
      - .actual_access:  read_only
        .address_space:  global
        .offset:         32
        .size:           8
        .value_kind:     global_buffer
      - .offset:         40
        .size:           8
        .value_kind:     by_value
      - .actual_access:  read_only
        .address_space:  global
        .offset:         48
        .size:           8
        .value_kind:     global_buffer
      - .actual_access:  read_only
        .address_space:  global
        .offset:         56
        .size:           8
        .value_kind:     global_buffer
      - .offset:         64
        .size:           4
        .value_kind:     by_value
      - .actual_access:  read_only
        .address_space:  global
        .offset:         72
        .size:           8
        .value_kind:     global_buffer
      - .actual_access:  read_only
        .address_space:  global
        .offset:         80
        .size:           8
        .value_kind:     global_buffer
      - .actual_access:  read_only
        .address_space:  global
        .offset:         88
        .size:           8
        .value_kind:     global_buffer
      - .actual_access:  write_only
        .address_space:  global
        .offset:         96
        .size:           8
        .value_kind:     global_buffer
    .group_segment_fixed_size: 0
    .kernarg_segment_align: 8
    .kernarg_segment_size: 104
    .language:       OpenCL C
    .language_version:
      - 2
      - 0
    .max_flat_workgroup_size: 240
    .name:           fft_rtc_back_len720_factors_10_3_8_3_wgs_240_tpt_120_halfLds_sp_op_CI_CI_unitstride_sbrr_C2R_dirReg
    .private_segment_fixed_size: 0
    .sgpr_count:     34
    .sgpr_spill_count: 0
    .symbol:         fft_rtc_back_len720_factors_10_3_8_3_wgs_240_tpt_120_halfLds_sp_op_CI_CI_unitstride_sbrr_C2R_dirReg.kd
    .uniform_work_group_size: 1
    .uses_dynamic_stack: false
    .vgpr_count:     79
    .vgpr_spill_count: 0
    .wavefront_size: 64
amdhsa.target:   amdgcn-amd-amdhsa--gfx950
amdhsa.version:
  - 1
  - 2
...

	.end_amdgpu_metadata
